;; amdgpu-corpus repo=ROCm/rocFFT kind=compiled arch=gfx1030 opt=O3
	.text
	.amdgcn_target "amdgcn-amd-amdhsa--gfx1030"
	.amdhsa_code_object_version 6
	.protected	bluestein_single_fwd_len60_dim1_dp_op_CI_CI ; -- Begin function bluestein_single_fwd_len60_dim1_dp_op_CI_CI
	.globl	bluestein_single_fwd_len60_dim1_dp_op_CI_CI
	.p2align	8
	.type	bluestein_single_fwd_len60_dim1_dp_op_CI_CI,@function
bluestein_single_fwd_len60_dim1_dp_op_CI_CI: ; @bluestein_single_fwd_len60_dim1_dp_op_CI_CI
; %bb.0:
	s_load_dwordx4 s[8:11], s[4:5], 0x28
	v_mul_u32_u24_e32 v1, 0x199a, v0
	s_mov_b32 s0, exec_lo
	v_lshrrev_b32_e32 v1, 16, v1
	v_mad_u64_u32 v[100:101], null, s6, 6, v[1:2]
	v_mov_b32_e32 v101, 0
	s_waitcnt lgkmcnt(0)
	v_cmpx_gt_u64_e64 s[8:9], v[100:101]
	s_cbranch_execz .LBB0_10
; %bb.1:
	s_clause 0x1
	s_load_dwordx4 s[0:3], s[4:5], 0x18
	s_load_dwordx4 s[12:15], s[4:5], 0x0
	v_mul_lo_u16 v1, v1, 10
	v_mul_hi_u32 v48, 0xaaaaaaab, v100
                                        ; implicit-def: $vgpr92_vgpr93
                                        ; implicit-def: $vgpr96_vgpr97
	v_sub_nc_u16 v76, v0, v1
	v_lshrrev_b32_e32 v72, 2, v48
	v_and_b32_e32 v151, 0xffff, v76
	v_mul_lo_u32 v72, v72, 6
	v_lshlrev_b32_e32 v153, 4, v151
	s_waitcnt lgkmcnt(0)
	s_load_dwordx4 s[16:19], s[0:1], 0x0
	v_sub_nc_u32_e32 v72, v100, v72
	s_waitcnt lgkmcnt(0)
	v_mad_u64_u32 v[0:1], null, s18, v100, 0
	v_mad_u64_u32 v[2:3], null, s16, v151, 0
	s_mul_i32 s0, s17, 0xa0
	s_mul_hi_u32 s1, s16, 0xa0
	s_mul_i32 s6, s16, 0xa0
	s_add_i32 s1, s1, s0
	v_mad_u64_u32 v[4:5], null, s19, v100, v[1:2]
	v_mad_u64_u32 v[5:6], null, s17, v151, v[3:4]
	v_mov_b32_e32 v1, v4
	v_lshlrev_b64 v[0:1], 4, v[0:1]
	v_mov_b32_e32 v3, v5
	v_add_co_u32 v0, vcc_lo, s10, v0
	v_lshlrev_b64 v[2:3], 4, v[2:3]
	v_add_co_ci_u32_e32 v1, vcc_lo, s11, v1, vcc_lo
	v_add_co_u32 v16, vcc_lo, v0, v2
	v_add_co_ci_u32_e32 v17, vcc_lo, v1, v3, vcc_lo
	s_clause 0x1
	global_load_dwordx4 v[0:3], v153, s[12:13]
	global_load_dwordx4 v[4:7], v153, s[12:13] offset:160
	v_add_co_u32 v18, vcc_lo, v16, s6
	v_add_co_ci_u32_e32 v19, vcc_lo, s1, v17, vcc_lo
	s_clause 0x1
	global_load_dwordx4 v[12:15], v153, s[12:13] offset:320
	global_load_dwordx4 v[8:11], v153, s[12:13] offset:480
	v_add_co_u32 v20, vcc_lo, v18, s6
	v_add_co_ci_u32_e32 v21, vcc_lo, s1, v19, vcc_lo
	global_load_dwordx4 v[24:27], v[16:17], off
	v_add_co_u32 v22, vcc_lo, v20, s6
	v_add_co_ci_u32_e32 v23, vcc_lo, s1, v21, vcc_lo
	s_clause 0x1
	global_load_dwordx4 v[28:31], v[18:19], off
	global_load_dwordx4 v[32:35], v[20:21], off
	v_add_co_u32 v16, vcc_lo, v22, s6
	v_add_co_ci_u32_e32 v17, vcc_lo, s1, v23, vcc_lo
	v_add_co_u32 v44, vcc_lo, v16, s6
	v_add_co_ci_u32_e32 v45, vcc_lo, s1, v17, vcc_lo
	s_clause 0x1
	global_load_dwordx4 v[36:39], v[22:23], off
	global_load_dwordx4 v[40:43], v[16:17], off
	s_clause 0x1
	global_load_dwordx4 v[16:19], v153, s[12:13] offset:640
	global_load_dwordx4 v[20:23], v153, s[12:13] offset:800
	global_load_dwordx4 v[44:47], v[44:45], off
	s_load_dwordx4 s[8:11], s[2:3], 0x0
	s_mov_b32 s0, 0xe8584caa
	s_mov_b32 s1, 0x3febb67a
	;; [unrolled: 1-line block ×4, first 2 shown]
	v_cmp_gt_u16_e32 vcc_lo, 6, v76
	s_waitcnt vmcnt(7)
	v_mul_f64 v[48:49], v[26:27], v[2:3]
	v_mul_f64 v[50:51], v[24:25], v[2:3]
	s_waitcnt vmcnt(6)
	v_mul_f64 v[52:53], v[30:31], v[6:7]
	v_mul_f64 v[54:55], v[28:29], v[6:7]
	;; [unrolled: 3-line block ×6, first 2 shown]
	v_fma_f64 v[24:25], v[24:25], v[0:1], v[48:49]
	v_fma_f64 v[26:27], v[26:27], v[0:1], -v[50:51]
	v_mul_u32_u24_e32 v48, 60, v72
	v_fma_f64 v[28:29], v[28:29], v[4:5], v[52:53]
	v_fma_f64 v[30:31], v[30:31], v[4:5], -v[54:55]
	v_fma_f64 v[32:33], v[32:33], v[12:13], v[56:57]
	v_fma_f64 v[34:35], v[34:35], v[12:13], -v[58:59]
	v_lshlrev_b32_e32 v155, 4, v48
	v_fma_f64 v[36:37], v[36:37], v[8:9], v[60:61]
	v_fma_f64 v[38:39], v[38:39], v[8:9], -v[62:63]
	v_fma_f64 v[40:41], v[40:41], v[16:17], v[64:65]
	v_fma_f64 v[42:43], v[42:43], v[16:17], -v[66:67]
	;; [unrolled: 2-line block ×3, first 2 shown]
	v_add_nc_u32_e32 v152, v153, v155
                                        ; implicit-def: $vgpr68_vgpr69
	ds_write_b128 v152, v[24:27]
	ds_write_b128 v152, v[28:31] offset:160
	ds_write_b128 v152, v[32:35] offset:320
	;; [unrolled: 1-line block ×5, first 2 shown]
	s_waitcnt lgkmcnt(0)
	s_barrier
	buffer_gl0_inv
	ds_read_b128 v[24:27], v152 offset:800
	ds_read_b128 v[28:31], v152 offset:480
	;; [unrolled: 1-line block ×5, first 2 shown]
	ds_read_b128 v[44:47], v152
	s_waitcnt lgkmcnt(0)
	s_barrier
	buffer_gl0_inv
	v_add_f64 v[48:49], v[30:31], v[26:27]
	v_add_f64 v[50:51], v[28:29], v[24:25]
	v_add_f64 v[52:53], v[30:31], -v[26:27]
	v_add_f64 v[54:55], v[28:29], -v[24:25]
	v_add_f64 v[56:57], v[32:33], v[36:37]
	v_add_f64 v[58:59], v[34:35], v[38:39]
	;; [unrolled: 1-line block ×4, first 2 shown]
	v_fma_f64 v[48:49], v[48:49], -0.5, v[42:43]
	v_fma_f64 v[50:51], v[50:51], -0.5, v[40:41]
	;; [unrolled: 1-line block ×4, first 2 shown]
	v_add_f64 v[24:25], v[28:29], v[24:25]
	v_add_f64 v[26:27], v[30:31], v[26:27]
	v_fma_f64 v[60:61], v[54:55], s[2:3], v[48:49]
	v_fma_f64 v[62:63], v[52:53], s[2:3], v[50:51]
	;; [unrolled: 1-line block ×4, first 2 shown]
	v_add_f64 v[52:53], v[44:45], v[32:33]
	v_add_f64 v[54:55], v[34:35], -v[38:39]
	v_add_f64 v[34:35], v[46:47], v[34:35]
	v_add_f64 v[32:33], v[32:33], -v[36:37]
	v_mul_f64 v[44:45], v[60:61], s[0:1]
	v_mul_f64 v[46:47], v[62:63], -0.5
	v_mul_f64 v[56:57], v[50:51], s[2:3]
	v_mul_f64 v[58:59], v[48:49], -0.5
	v_add_f64 v[36:37], v[52:53], v[36:37]
	v_fma_f64 v[28:29], v[54:55], s[0:1], v[40:41]
	v_add_f64 v[34:35], v[34:35], v[38:39]
	v_fma_f64 v[30:31], v[54:55], s[2:3], v[40:41]
	v_fma_f64 v[38:39], v[32:33], s[2:3], v[42:43]
	v_fma_f64 v[32:33], v[32:33], s[0:1], v[42:43]
	v_fma_f64 v[40:41], v[50:51], 0.5, v[44:45]
	v_fma_f64 v[42:43], v[48:49], s[0:1], v[46:47]
	v_fma_f64 v[44:45], v[60:61], 0.5, v[56:57]
	v_fma_f64 v[46:47], v[62:63], s[2:3], v[58:59]
	v_add_f64 v[72:73], v[36:37], v[24:25]
	v_add_f64 v[84:85], v[36:37], -v[24:25]
	v_add_f64 v[74:75], v[34:35], v[26:27]
	v_add_f64 v[86:87], v[34:35], -v[26:27]
	s_load_dwordx2 s[2:3], s[4:5], 0x38
	v_mul_lo_u16 v48, v76, 6
	v_add_co_u32 v101, s0, s12, v153
	v_add_co_ci_u32_e64 v102, null, s13, 0, s0
	v_and_b32_e32 v24, 0xffff, v48
                                        ; implicit-def: $vgpr76_vgpr77
	v_lshl_add_u32 v154, v24, 4, v155
	v_add_f64 v[80:81], v[28:29], v[40:41]
	v_add_f64 v[60:61], v[30:31], v[42:43]
	;; [unrolled: 1-line block ×4, first 2 shown]
	v_add_f64 v[64:65], v[28:29], -v[40:41]
	v_add_f64 v[88:89], v[30:31], -v[42:43]
	;; [unrolled: 1-line block ×4, first 2 shown]
	ds_write_b128 v154, v[72:75]
	ds_write_b128 v154, v[84:87] offset:48
	ds_write_b128 v154, v[80:83] offset:16
	;; [unrolled: 1-line block ×5, first 2 shown]
	s_waitcnt lgkmcnt(0)
	s_barrier
	buffer_gl0_inv
	s_and_saveexec_b32 s0, vcc_lo
	s_cbranch_execz .LBB0_3
; %bb.2:
	ds_read_b128 v[72:75], v152
	ds_read_b128 v[80:83], v152 offset:96
	ds_read_b128 v[60:63], v152 offset:192
	;; [unrolled: 1-line block ×9, first 2 shown]
.LBB0_3:
	s_or_b32 exec_lo, exec_lo, s0
	v_add_nc_u32_e32 v24, -6, v151
	s_mov_b32 s5, 0xbfee6f0e
	s_mov_b32 s6, 0x4755a5e
	;; [unrolled: 1-line block ×4, first 2 shown]
	v_cndmask_b32_e32 v24, v24, v151, vcc_lo
	s_mov_b32 s17, 0x3fd3c6ef
	s_mov_b32 s18, 0x9b97f4a8
	;; [unrolled: 1-line block ×3, first 2 shown]
	v_mul_i32_i24_e32 v25, 0x90, v24
	v_mul_hi_i32_i24_e32 v24, 0x90, v24
	v_add_co_u32 v48, s0, s14, v25
	v_add_co_ci_u32_e64 v49, s0, s15, v24, s0
	s_mov_b32 s0, 0x134454ff
	s_mov_b32 s1, 0x3fee6f0e
	;; [unrolled: 1-line block ×3, first 2 shown]
	s_clause 0x8
	global_load_dwordx4 v[24:27], v[48:49], off offset:32
	global_load_dwordx4 v[32:35], v[48:49], off offset:64
	;; [unrolled: 1-line block ×4, first 2 shown]
	global_load_dwordx4 v[28:31], v[48:49], off
	global_load_dwordx4 v[56:59], v[48:49], off offset:16
	global_load_dwordx4 v[40:43], v[48:49], off offset:48
	;; [unrolled: 1-line block ×4, first 2 shown]
	s_mov_b32 s15, 0xbfe2cf23
	s_mov_b32 s14, s6
	s_waitcnt vmcnt(8) lgkmcnt(6)
	v_mul_f64 v[103:104], v[86:87], v[26:27]
	v_mul_f64 v[107:108], v[84:85], v[26:27]
	s_waitcnt vmcnt(7) lgkmcnt(4)
	v_mul_f64 v[111:112], v[90:91], v[34:35]
	v_mul_f64 v[113:114], v[88:89], v[34:35]
	;; [unrolled: 3-line block ×4, first 2 shown]
	s_waitcnt vmcnt(4)
	v_mul_f64 v[123:124], v[82:83], v[30:31]
	v_mul_f64 v[125:126], v[80:81], v[30:31]
	s_waitcnt vmcnt(0)
	v_mul_f64 v[127:128], v[78:79], v[50:51]
	v_mul_f64 v[129:130], v[76:77], v[50:51]
	v_fma_f64 v[105:106], v[84:85], v[24:25], -v[103:104]
	v_fma_f64 v[109:110], v[86:87], v[24:25], v[107:108]
	v_fma_f64 v[103:104], v[88:89], v[32:33], -v[111:112]
	v_fma_f64 v[107:108], v[90:91], v[32:33], v[113:114]
	;; [unrolled: 2-line block ×4, first 2 shown]
	v_mul_f64 v[92:93], v[62:63], v[58:59]
	v_mul_f64 v[94:95], v[60:61], v[58:59]
	;; [unrolled: 1-line block ×6, first 2 shown]
	v_fma_f64 v[80:81], v[80:81], v[28:29], -v[123:124]
	v_fma_f64 v[82:83], v[82:83], v[28:29], v[125:126]
	v_add_f64 v[137:138], v[107:108], -v[109:110]
	v_add_f64 v[123:124], v[103:104], v[86:87]
	v_add_f64 v[125:126], v[107:108], v[90:91]
	;; [unrolled: 1-line block ×4, first 2 shown]
	v_fma_f64 v[115:116], v[60:61], v[56:57], -v[92:93]
	v_fma_f64 v[117:118], v[62:63], v[56:57], v[94:95]
	v_fma_f64 v[98:99], v[64:65], v[40:41], -v[96:97]
	v_fma_f64 v[113:114], v[66:67], v[40:41], v[111:112]
	;; [unrolled: 2-line block ×4, first 2 shown]
	v_add_f64 v[60:61], v[109:110], -v[88:89]
	v_add_f64 v[62:63], v[107:108], -v[90:91]
	;; [unrolled: 1-line block ×8, first 2 shown]
	v_fma_f64 v[68:69], v[123:124], -0.5, v[80:81]
	v_fma_f64 v[70:71], v[125:126], -0.5, v[82:83]
	;; [unrolled: 1-line block ×4, first 2 shown]
	v_add_f64 v[123:124], v[103:104], -v[105:106]
	v_add_f64 v[125:126], v[86:87], -v[84:85]
	;; [unrolled: 1-line block ×4, first 2 shown]
	v_add_f64 v[127:128], v[98:99], v[94:95]
	v_add_f64 v[135:136], v[113:114], v[111:112]
	v_add_f64 v[131:132], v[115:116], v[92:93]
	v_add_f64 v[139:140], v[117:118], v[96:97]
	v_add_f64 v[160:161], v[117:118], -v[96:97]
	v_add_f64 v[162:163], v[113:114], -v[111:112]
	;; [unrolled: 1-line block ×5, first 2 shown]
	v_add_f64 v[119:120], v[119:120], v[121:122]
	v_fma_f64 v[145:146], v[60:61], s[0:1], v[68:69]
	v_fma_f64 v[143:144], v[64:65], s[4:5], v[70:71]
	v_fma_f64 v[149:150], v[62:63], s[4:5], v[76:77]
	v_fma_f64 v[147:148], v[66:67], s[0:1], v[78:79]
	v_fma_f64 v[76:77], v[62:63], s[0:1], v[76:77]
	v_fma_f64 v[78:79], v[66:67], s[4:5], v[78:79]
	v_fma_f64 v[68:69], v[60:61], s[4:5], v[68:69]
	v_fma_f64 v[70:71], v[64:65], s[0:1], v[70:71]
	v_fma_f64 v[127:128], v[127:128], -0.5, v[72:73]
	v_add_f64 v[123:124], v[123:124], v[125:126]
	v_fma_f64 v[121:122], v[131:132], -0.5, v[72:73]
	v_fma_f64 v[125:126], v[135:136], -0.5, v[74:75]
	v_add_f64 v[129:130], v[129:130], v[133:134]
	v_fma_f64 v[131:132], v[139:140], -0.5, v[74:75]
	v_add_f64 v[133:134], v[137:138], v[141:142]
	v_fma_f64 v[137:138], v[62:63], s[6:7], v[145:146]
	v_fma_f64 v[135:136], v[66:67], s[14:15], v[143:144]
	;; [unrolled: 1-line block ×8, first 2 shown]
	v_add_f64 v[68:69], v[98:99], -v[115:116]
	v_add_f64 v[70:71], v[94:95], -v[92:93]
	;; [unrolled: 1-line block ×6, first 2 shown]
	v_fma_f64 v[147:148], v[160:161], s[0:1], v[127:128]
	v_fma_f64 v[127:128], v[160:161], s[4:5], v[127:128]
	v_fma_f64 v[149:150], v[162:163], s[4:5], v[121:122]
	v_fma_f64 v[121:122], v[162:163], s[0:1], v[121:122]
	v_fma_f64 v[168:169], v[164:165], s[4:5], v[125:126]
	v_fma_f64 v[125:126], v[164:165], s[0:1], v[125:126]
	v_fma_f64 v[170:171], v[166:167], s[0:1], v[131:132]
	v_fma_f64 v[131:132], v[166:167], s[4:5], v[131:132]
	v_fma_f64 v[172:173], v[119:120], s[16:17], v[137:138]
	v_fma_f64 v[135:136], v[129:130], s[16:17], v[135:136]
	v_fma_f64 v[176:177], v[123:124], s[16:17], v[141:142]
	v_fma_f64 v[174:175], v[133:134], s[16:17], v[139:140]
	v_fma_f64 v[60:61], v[123:124], s[16:17], v[60:61]
	v_fma_f64 v[64:65], v[133:134], s[16:17], v[64:65]
	v_fma_f64 v[62:63], v[119:120], s[16:17], v[62:63]
	v_fma_f64 v[66:67], v[129:130], s[16:17], v[66:67]
	v_add_f64 v[123:124], v[156:157], v[158:159]
	v_add_f64 v[68:69], v[68:69], v[70:71]
	;; [unrolled: 1-line block ×4, first 2 shown]
	v_fma_f64 v[78:79], v[162:163], s[6:7], v[147:148]
	v_fma_f64 v[127:128], v[162:163], s[14:15], v[127:128]
	v_fma_f64 v[133:134], v[160:161], s[6:7], v[149:150]
	v_fma_f64 v[137:138], v[160:161], s[14:15], v[121:122]
	v_fma_f64 v[139:140], v[166:167], s[14:15], v[168:169]
	v_fma_f64 v[141:142], v[166:167], s[6:7], v[125:126]
	v_fma_f64 v[145:146], v[164:165], s[14:15], v[170:171]
	v_fma_f64 v[131:132], v[164:165], s[6:7], v[131:132]
	v_mul_f64 v[149:150], v[172:173], s[14:15]
	v_mul_f64 v[147:148], v[135:136], s[6:7]
	;; [unrolled: 1-line block ×8, first 2 shown]
	v_fma_f64 v[119:120], v[123:124], s[16:17], v[78:79]
	v_fma_f64 v[129:130], v[123:124], s[16:17], v[127:128]
	;; [unrolled: 1-line block ×12, first 2 shown]
	v_fma_f64 v[131:132], v[64:65], s[0:1], -v[160:161]
	v_fma_f64 v[147:148], v[60:61], s[4:5], -v[162:163]
	;; [unrolled: 1-line block ×4, first 2 shown]
	v_add_f64 v[62:63], v[133:134], -v[139:140]
	v_add_f64 v[60:61], v[119:120], -v[123:124]
	;; [unrolled: 1-line block ×8, first 2 shown]
	s_and_saveexec_b32 s0, vcc_lo
	s_cbranch_execz .LBB0_5
; %bb.4:
	v_add_f64 v[74:75], v[74:75], v[117:118]
	v_add_f64 v[82:83], v[82:83], v[109:110]
	v_add_f64 v[72:73], v[72:73], v[115:116]
	v_add_f64 v[80:81], v[80:81], v[105:106]
	v_add_f64 v[74:75], v[74:75], v[113:114]
	v_add_f64 v[82:83], v[82:83], v[107:108]
	v_add_f64 v[72:73], v[72:73], v[98:99]
	v_add_f64 v[80:81], v[80:81], v[103:104]
	v_add_f64 v[74:75], v[74:75], v[111:112]
	v_add_f64 v[82:83], v[82:83], v[90:91]
	v_add_f64 v[72:73], v[72:73], v[94:95]
	v_add_f64 v[80:81], v[80:81], v[86:87]
	v_add_f64 v[90:91], v[133:134], v[139:140]
	v_add_f64 v[86:87], v[137:138], v[145:146]
	v_add_f64 v[96:97], v[74:75], v[96:97]
	v_add_f64 v[98:99], v[82:83], v[88:89]
	v_add_f64 v[92:93], v[72:73], v[92:93]
	v_add_f64 v[103:104], v[80:81], v[84:85]
	v_add_f64 v[88:89], v[119:120], v[123:124]
	v_add_f64 v[84:85], v[121:122], v[127:128]
	v_add_f64 v[82:83], v[141:142], v[147:148]
	v_add_f64 v[80:81], v[125:126], v[131:132]
	v_add_f64 v[74:75], v[143:144], v[149:150]
	v_add_f64 v[72:73], v[129:130], v[135:136]
	v_add_f64 v[94:95], v[96:97], -v[98:99]
	v_add_f64 v[98:99], v[96:97], v[98:99]
	v_add_f64 v[96:97], v[92:93], v[103:104]
	v_add_f64 v[92:93], v[92:93], -v[103:104]
	v_lshl_add_u32 v103, v151, 4, v155
	ds_write_b128 v103, v[88:91] offset:96
	ds_write_b128 v103, v[84:87] offset:192
	;; [unrolled: 1-line block ×4, first 2 shown]
	ds_write_b128 v152, v[96:99]
	ds_write_b128 v152, v[92:95] offset:480
	ds_write_b128 v103, v[60:63] offset:576
	;; [unrolled: 1-line block ×5, first 2 shown]
.LBB0_5:
	s_or_b32 exec_lo, exec_lo, s0
	s_waitcnt lgkmcnt(0)
	s_barrier
	buffer_gl0_inv
	global_load_dwordx4 v[72:75], v[101:102], off offset:960
	s_add_u32 s0, s12, 0x3c0
	s_addc_u32 s1, s13, 0
	s_clause 0x4
	global_load_dwordx4 v[80:83], v153, s[0:1] offset:160
	global_load_dwordx4 v[84:87], v153, s[0:1] offset:320
	;; [unrolled: 1-line block ×5, first 2 shown]
	ds_read_b128 v[101:104], v152
	ds_read_b128 v[105:108], v152 offset:160
	s_mov_b32 s0, 0xe8584caa
	s_mov_b32 s1, 0xbfebb67a
	;; [unrolled: 1-line block ×4, first 2 shown]
	s_waitcnt vmcnt(5) lgkmcnt(1)
	v_mul_f64 v[109:110], v[103:104], v[74:75]
	v_mul_f64 v[74:75], v[101:102], v[74:75]
	v_fma_f64 v[109:110], v[101:102], v[72:73], -v[109:110]
	v_fma_f64 v[111:112], v[103:104], v[72:73], v[74:75]
	v_lshl_add_u32 v101, v151, 4, v155
	ds_read_b128 v[72:75], v152 offset:320
	ds_read_b128 v[113:116], v152 offset:640
	s_waitcnt vmcnt(4) lgkmcnt(2)
	v_mul_f64 v[102:103], v[107:108], v[82:83]
	v_mul_f64 v[82:83], v[105:106], v[82:83]
	s_waitcnt vmcnt(3) lgkmcnt(1)
	v_mul_f64 v[121:122], v[74:75], v[86:87]
	ds_write_b128 v152, v[109:112]
	ds_read_b128 v[109:112], v101 offset:480
	ds_read_b128 v[117:120], v152 offset:800
	v_mul_f64 v[86:87], v[72:73], v[86:87]
	s_waitcnt vmcnt(2) lgkmcnt(3)
	v_mul_f64 v[123:124], v[115:116], v[90:91]
	v_mul_f64 v[90:91], v[113:114], v[90:91]
	v_fma_f64 v[102:103], v[105:106], v[80:81], -v[102:103]
	v_fma_f64 v[104:105], v[107:108], v[80:81], v[82:83]
	s_waitcnt vmcnt(1) lgkmcnt(1)
	v_mul_f64 v[125:126], v[111:112], v[94:95]
	v_mul_f64 v[94:95], v[109:110], v[94:95]
	s_waitcnt vmcnt(0) lgkmcnt(0)
	v_mul_f64 v[127:128], v[119:120], v[98:99]
	v_mul_f64 v[98:99], v[117:118], v[98:99]
	v_fma_f64 v[72:73], v[72:73], v[84:85], -v[121:122]
	v_fma_f64 v[74:75], v[74:75], v[84:85], v[86:87]
	v_fma_f64 v[80:81], v[113:114], v[88:89], -v[123:124]
	v_fma_f64 v[82:83], v[115:116], v[88:89], v[90:91]
	;; [unrolled: 2-line block ×4, first 2 shown]
	ds_write_b128 v152, v[102:105] offset:160
	ds_write_b128 v152, v[72:75] offset:320
	;; [unrolled: 1-line block ×5, first 2 shown]
	s_waitcnt lgkmcnt(0)
	s_barrier
	buffer_gl0_inv
	ds_read_b128 v[72:75], v101 offset:480
	ds_read_b128 v[80:83], v152 offset:800
	;; [unrolled: 1-line block ×5, first 2 shown]
	s_waitcnt lgkmcnt(3)
	v_add_f64 v[96:97], v[74:75], v[82:83]
	v_add_f64 v[102:103], v[72:73], v[80:81]
	v_add_f64 v[104:105], v[72:73], -v[80:81]
	s_waitcnt lgkmcnt(0)
	v_add_f64 v[108:109], v[88:89], v[92:93]
	v_add_f64 v[110:111], v[90:91], v[94:95]
	v_add_f64 v[112:113], v[74:75], -v[82:83]
	v_add_f64 v[116:117], v[90:91], -v[94:95]
	v_add_f64 v[72:73], v[84:85], v[72:73]
	v_add_f64 v[74:75], v[86:87], v[74:75]
	v_fma_f64 v[106:107], v[96:97], -0.5, v[86:87]
	v_fma_f64 v[102:103], v[102:103], -0.5, v[84:85]
	ds_read_b128 v[96:99], v152
	s_waitcnt lgkmcnt(0)
	s_barrier
	buffer_gl0_inv
	v_add_f64 v[80:81], v[72:73], v[80:81]
	v_add_f64 v[82:83], v[74:75], v[82:83]
	;; [unrolled: 1-line block ×3, first 2 shown]
	v_fma_f64 v[114:115], v[104:105], s[4:5], v[106:107]
	v_fma_f64 v[104:105], v[104:105], s[0:1], v[106:107]
	v_add_f64 v[106:107], v[96:97], v[88:89]
	v_add_f64 v[88:89], v[88:89], -v[92:93]
	v_fma_f64 v[84:85], v[108:109], -0.5, v[96:97]
	v_fma_f64 v[86:87], v[110:111], -0.5, v[98:99]
	v_fma_f64 v[96:97], v[112:113], s[0:1], v[102:103]
	v_fma_f64 v[98:99], v[112:113], s[4:5], v[102:103]
	v_add_f64 v[90:91], v[90:91], v[94:95]
	v_mul_f64 v[102:103], v[114:115], s[0:1]
	v_mul_f64 v[108:109], v[104:105], s[0:1]
	v_mul_f64 v[110:111], v[114:115], 0.5
	v_mul_f64 v[104:105], v[104:105], -0.5
	v_add_f64 v[92:93], v[106:107], v[92:93]
	v_fma_f64 v[106:107], v[116:117], s[0:1], v[84:85]
	v_fma_f64 v[112:113], v[116:117], s[4:5], v[84:85]
	;; [unrolled: 1-line block ×4, first 2 shown]
	v_add_f64 v[74:75], v[90:91], v[82:83]
	v_fma_f64 v[84:85], v[96:97], 0.5, v[102:103]
	v_fma_f64 v[86:87], v[98:99], -0.5, v[108:109]
	v_fma_f64 v[102:103], v[96:97], s[4:5], v[110:111]
	v_fma_f64 v[98:99], v[98:99], s[4:5], v[104:105]
	v_add_f64 v[72:73], v[92:93], v[80:81]
	v_add_f64 v[92:93], v[92:93], -v[80:81]
	v_add_f64 v[94:95], v[90:91], -v[82:83]
	v_add_f64 v[80:81], v[106:107], v[84:85]
	v_add_f64 v[88:89], v[112:113], v[86:87]
	;; [unrolled: 1-line block ×4, first 2 shown]
	v_add_f64 v[84:85], v[106:107], -v[84:85]
	v_add_f64 v[96:97], v[112:113], -v[86:87]
	;; [unrolled: 1-line block ×4, first 2 shown]
	ds_write_b128 v154, v[72:75]
	ds_write_b128 v154, v[92:95] offset:48
	ds_write_b128 v154, v[80:83] offset:16
	;; [unrolled: 1-line block ×5, first 2 shown]
	s_waitcnt lgkmcnt(0)
	s_barrier
	buffer_gl0_inv
	s_and_saveexec_b32 s0, vcc_lo
	s_cbranch_execz .LBB0_7
; %bb.6:
	ds_read_b128 v[72:75], v152
	ds_read_b128 v[80:83], v152 offset:96
	ds_read_b128 v[88:91], v152 offset:192
	;; [unrolled: 1-line block ×9, first 2 shown]
.LBB0_7:
	s_or_b32 exec_lo, exec_lo, s0
	s_and_saveexec_b32 s22, vcc_lo
	s_cbranch_execz .LBB0_9
; %bb.8:
	s_waitcnt lgkmcnt(6)
	v_mul_f64 v[102:103], v[26:27], v[92:93]
	s_waitcnt lgkmcnt(1)
	v_mul_f64 v[104:105], v[34:35], v[96:97]
	v_mul_f64 v[106:107], v[38:39], v[68:69]
	s_waitcnt lgkmcnt(0)
	v_mul_f64 v[108:109], v[54:55], v[76:77]
	v_mul_f64 v[26:27], v[26:27], v[94:95]
	;; [unrolled: 1-line block ×15, first 2 shown]
	s_mov_b32 s4, 0x134454ff
	s_mov_b32 s5, 0xbfee6f0e
	;; [unrolled: 1-line block ×4, first 2 shown]
	v_fma_f64 v[94:95], v[24:25], v[94:95], -v[102:103]
	v_fma_f64 v[98:99], v[32:33], v[98:99], -v[104:105]
	;; [unrolled: 1-line block ×4, first 2 shown]
	v_fma_f64 v[24:25], v[24:25], v[92:93], v[26:27]
	v_fma_f64 v[26:27], v[32:33], v[96:97], v[34:35]
	;; [unrolled: 1-line block ×4, first 2 shown]
	v_fma_f64 v[38:39], v[28:29], v[82:83], -v[118:119]
	v_fma_f64 v[90:91], v[56:57], v[90:91], -v[110:111]
	;; [unrolled: 1-line block ×5, first 2 shown]
	v_fma_f64 v[36:37], v[56:57], v[88:89], v[58:59]
	v_fma_f64 v[48:49], v[48:49], v[64:65], v[50:51]
	;; [unrolled: 1-line block ×5, first 2 shown]
	s_mov_b32 s6, 0x4755a5e
	s_mov_b32 s7, 0xbfe2cf23
	;; [unrolled: 1-line block ×5, first 2 shown]
	v_add_f64 v[88:89], v[94:95], -v[98:99]
	v_add_f64 v[52:53], v[98:99], v[70:71]
	v_add_f64 v[54:55], v[94:95], v[78:79]
	v_add_f64 v[82:83], v[94:95], -v[78:79]
	v_add_f64 v[84:85], v[98:99], -v[70:71]
	v_add_f64 v[50:51], v[24:25], v[34:35]
	v_add_f64 v[46:47], v[26:27], v[32:33]
	v_add_f64 v[56:57], v[24:25], -v[34:35]
	v_add_f64 v[58:59], v[26:27], -v[32:33]
	;; [unrolled: 1-line block ×3, first 2 shown]
	v_add_f64 v[104:105], v[90:91], v[66:67]
	v_add_f64 v[60:61], v[86:87], v[62:63]
	v_add_f64 v[110:111], v[98:99], -v[94:95]
	v_add_f64 v[112:113], v[70:71], -v[78:79]
	v_add_f64 v[120:121], v[36:37], v[48:49]
	v_add_f64 v[118:119], v[40:41], v[42:43]
	v_add_f64 v[30:31], v[90:91], -v[86:87]
	v_add_f64 v[44:45], v[66:67], -v[62:63]
	;; [unrolled: 1-line block ×6, first 2 shown]
	v_add_f64 v[114:115], v[74:75], v[90:91]
	v_fma_f64 v[52:53], v[52:53], -0.5, v[38:39]
	v_fma_f64 v[54:55], v[54:55], -0.5, v[38:39]
	v_add_f64 v[38:39], v[38:39], v[94:95]
	v_add_f64 v[122:123], v[36:37], -v[40:41]
	v_fma_f64 v[50:51], v[50:51], -0.5, v[28:29]
	v_fma_f64 v[46:47], v[46:47], -0.5, v[28:29]
	v_add_f64 v[128:129], v[40:41], -v[36:37]
	v_add_f64 v[36:37], v[72:73], v[36:37]
	v_add_f64 v[24:25], v[28:29], v[24:25]
	v_add_f64 v[96:97], v[86:87], -v[90:91]
	v_add_f64 v[90:91], v[90:91], -v[66:67]
	v_fma_f64 v[28:29], v[60:61], -0.5, v[74:75]
	v_fma_f64 v[60:61], v[104:105], -0.5, v[74:75]
	v_add_f64 v[74:75], v[88:89], v[92:93]
	v_add_f64 v[88:89], v[110:111], v[112:113]
	v_add_f64 v[68:69], v[40:41], -v[42:43]
	v_add_f64 v[108:109], v[32:33], -v[34:35]
	;; [unrolled: 1-line block ×3, first 2 shown]
	s_mov_b32 s1, 0x3fd3c6ef
	v_add_f64 v[30:31], v[30:31], v[44:45]
	v_add_f64 v[44:45], v[76:77], v[80:81]
	;; [unrolled: 1-line block ×3, first 2 shown]
	v_fma_f64 v[94:95], v[56:57], s[4:5], v[52:53]
	v_fma_f64 v[116:117], v[58:59], s[16:17], v[54:55]
	;; [unrolled: 1-line block ×8, first 2 shown]
	v_add_f64 v[38:39], v[38:39], v[98:99]
	v_add_f64 v[36:37], v[36:37], v[40:41]
	v_add_f64 v[24:25], v[24:25], v[26:27]
	v_add_f64 v[124:125], v[48:49], -v[42:43]
	v_fma_f64 v[26:27], v[64:65], s[4:5], v[28:29]
	v_fma_f64 v[28:29], v[64:65], s[16:17], v[28:29]
	v_add_f64 v[102:103], v[62:63], -v[66:67]
	v_add_f64 v[130:131], v[42:43], -v[48:49]
	v_add_f64 v[76:77], v[106:107], v[108:109]
	v_fma_f64 v[40:41], v[68:69], s[16:17], v[60:61]
	v_fma_f64 v[60:61], v[68:69], s[4:5], v[60:61]
	s_mov_b32 s12, 0x9b97f4a8
	s_mov_b32 s13, 0xbfe9e377
	;; [unrolled: 1-line block ×3, first 2 shown]
	v_fma_f64 v[94:95], v[58:59], s[6:7], v[94:95]
	v_fma_f64 v[110:111], v[56:57], s[6:7], v[116:117]
	;; [unrolled: 1-line block ×4, first 2 shown]
	v_fma_f64 v[56:57], v[118:119], -0.5, v[72:73]
	v_fma_f64 v[58:59], v[120:121], -0.5, v[72:73]
	v_fma_f64 v[86:87], v[84:85], s[18:19], v[92:93]
	v_fma_f64 v[92:93], v[82:83], s[18:19], v[104:105]
	;; [unrolled: 1-line block ×4, first 2 shown]
	s_mov_b32 s20, s12
	v_add_f64 v[62:63], v[80:81], v[62:63]
	v_add_f64 v[38:39], v[38:39], v[70:71]
	;; [unrolled: 1-line block ×4, first 2 shown]
	s_mov_b32 s15, 0xbfd3c6ef
	s_mov_b32 s14, s0
	v_fma_f64 v[28:29], v[68:69], s[18:19], v[28:29]
	v_add_f64 v[72:73], v[96:97], v[102:103]
	v_add_f64 v[96:97], v[128:129], v[130:131]
	v_fma_f64 v[26:27], v[68:69], s[6:7], v[26:27]
	v_fma_f64 v[32:33], v[64:65], s[6:7], v[40:41]
	;; [unrolled: 1-line block ×10, first 2 shown]
	v_add_f64 v[94:95], v[122:123], v[124:125]
	v_fma_f64 v[42:43], v[44:45], s[0:1], v[86:87]
	v_fma_f64 v[44:45], v[44:45], s[0:1], v[46:47]
	;; [unrolled: 1-line block ×5, first 2 shown]
	v_add_f64 v[62:63], v[62:63], v[66:67]
	v_add_f64 v[38:39], v[38:39], v[78:79]
	;; [unrolled: 1-line block ×4, first 2 shown]
	v_fma_f64 v[66:67], v[30:31], s[0:1], v[28:29]
	v_fma_f64 v[48:49], v[30:31], s[0:1], v[26:27]
	;; [unrolled: 1-line block ×3, first 2 shown]
	v_mul_f64 v[46:47], v[82:83], s[12:13]
	v_mul_f64 v[64:65], v[84:85], s[14:15]
	;; [unrolled: 1-line block ×5, first 2 shown]
	v_fma_f64 v[56:57], v[126:127], s[6:7], v[56:57]
	v_mul_f64 v[54:55], v[54:55], s[4:5]
	v_fma_f64 v[58:59], v[90:91], s[6:7], v[58:59]
	v_fma_f64 v[76:77], v[90:91], s[18:19], v[88:89]
	v_mul_f64 v[80:81], v[84:85], s[4:5]
	v_fma_f64 v[74:75], v[126:127], s[18:19], v[74:75]
	v_mul_f64 v[82:83], v[82:83], s[6:7]
	v_fma_f64 v[40:41], v[72:73], s[0:1], v[40:41]
	v_add_f64 v[30:31], v[62:63], v[38:39]
	v_add_f64 v[26:27], v[62:63], -v[38:39]
	v_add_f64 v[28:29], v[36:37], v[34:35]
	v_add_f64 v[24:25], v[36:37], -v[34:35]
	v_fma_f64 v[72:73], v[42:43], s[18:19], v[46:47]
	v_fma_f64 v[64:65], v[60:61], s[16:17], v[64:65]
	;; [unrolled: 1-line block ×12, first 2 shown]
	v_add_f64 v[34:35], v[48:49], -v[72:73]
	v_add_f64 v[54:55], v[32:33], v[64:65]
	v_add_f64 v[58:59], v[40:41], v[68:69]
	;; [unrolled: 1-line block ×5, first 2 shown]
	v_add_f64 v[46:47], v[66:67], -v[70:71]
	v_add_f64 v[56:57], v[78:79], v[86:87]
	v_add_f64 v[44:45], v[84:85], -v[44:45]
	v_add_f64 v[52:53], v[76:77], v[80:81]
	;; [unrolled: 2-line block ×3, first 2 shown]
	v_add_f64 v[40:41], v[78:79], -v[86:87]
	v_add_f64 v[38:39], v[32:33], -v[64:65]
	v_add_f64 v[36:37], v[76:77], -v[80:81]
	v_add_f64 v[32:33], v[74:75], -v[82:83]
	ds_write_b128 v152, v[28:31]
	ds_write_b128 v101, v[24:27] offset:480
	ds_write_b128 v101, v[60:63] offset:96
	;; [unrolled: 1-line block ×9, first 2 shown]
.LBB0_9:
	s_or_b32 exec_lo, exec_lo, s22
	s_waitcnt lgkmcnt(0)
	s_barrier
	buffer_gl0_inv
	ds_read_b128 v[24:27], v152
	ds_read_b128 v[28:31], v152 offset:160
	ds_read_b128 v[32:35], v152 offset:320
	;; [unrolled: 1-line block ×3, first 2 shown]
	v_mad_u64_u32 v[48:49], null, s10, v100, 0
	v_mad_u64_u32 v[50:51], null, s8, v151, 0
	ds_read_b128 v[40:43], v152 offset:640
	ds_read_b128 v[44:47], v152 offset:800
	s_mov_b32 s0, 0x11111111
	s_mov_b32 s1, 0x3f911111
	s_mul_i32 s4, s9, 0xa0
	s_mul_hi_u32 s5, s8, 0xa0
	s_mul_i32 s6, s8, 0xa0
	v_mad_u64_u32 v[52:53], null, s11, v100, v[49:50]
	s_add_i32 s5, s5, s4
	s_waitcnt lgkmcnt(5)
	v_mul_f64 v[53:54], v[2:3], v[26:27]
	v_mul_f64 v[2:3], v[2:3], v[24:25]
	s_waitcnt lgkmcnt(4)
	v_mul_f64 v[55:56], v[6:7], v[30:31]
	v_mul_f64 v[6:7], v[6:7], v[28:29]
	v_mad_u64_u32 v[57:58], null, s9, v151, v[51:52]
	s_waitcnt lgkmcnt(3)
	v_mul_f64 v[58:59], v[14:15], v[34:35]
	v_mul_f64 v[14:15], v[14:15], v[32:33]
	s_waitcnt lgkmcnt(2)
	v_mul_f64 v[60:61], v[10:11], v[38:39]
	v_mul_f64 v[10:11], v[10:11], v[36:37]
	;; [unrolled: 3-line block ×4, first 2 shown]
	v_mov_b32_e32 v49, v52
	v_mov_b32_e32 v51, v57
	v_lshlrev_b64 v[48:49], 4, v[48:49]
	v_fma_f64 v[24:25], v[0:1], v[24:25], v[53:54]
	v_fma_f64 v[2:3], v[0:1], v[26:27], -v[2:3]
	v_fma_f64 v[26:27], v[4:5], v[28:29], v[55:56]
	v_fma_f64 v[6:7], v[4:5], v[30:31], -v[6:7]
	v_lshlrev_b64 v[0:1], 4, v[50:51]
	v_add_co_u32 v4, vcc_lo, s2, v48
	v_fma_f64 v[28:29], v[12:13], v[32:33], v[58:59]
	v_fma_f64 v[12:13], v[12:13], v[34:35], -v[14:15]
	v_fma_f64 v[14:15], v[8:9], v[36:37], v[60:61]
	v_fma_f64 v[30:31], v[8:9], v[38:39], -v[10:11]
	;; [unrolled: 2-line block ×4, first 2 shown]
	v_add_co_ci_u32_e32 v5, vcc_lo, s3, v49, vcc_lo
	v_add_co_u32 v36, vcc_lo, v4, v0
	v_add_co_ci_u32_e32 v37, vcc_lo, v5, v1, vcc_lo
	v_mul_f64 v[0:1], v[24:25], s[0:1]
	v_mul_f64 v[2:3], v[2:3], s[0:1]
	v_add_co_u32 v24, vcc_lo, v36, s6
	v_mul_f64 v[4:5], v[26:27], s[0:1]
	v_mul_f64 v[6:7], v[6:7], s[0:1]
	v_add_co_ci_u32_e32 v25, vcc_lo, s5, v37, vcc_lo
	v_mul_f64 v[8:9], v[28:29], s[0:1]
	v_mul_f64 v[10:11], v[12:13], s[0:1]
	;; [unrolled: 1-line block ×8, first 2 shown]
	v_add_co_u32 v26, vcc_lo, v24, s6
	v_add_co_ci_u32_e32 v27, vcc_lo, s5, v25, vcc_lo
	v_add_co_u32 v28, vcc_lo, v26, s6
	v_add_co_ci_u32_e32 v29, vcc_lo, s5, v27, vcc_lo
	global_store_dwordx4 v[36:37], v[0:3], off
	v_add_co_u32 v30, vcc_lo, v28, s6
	v_add_co_ci_u32_e32 v31, vcc_lo, s5, v29, vcc_lo
	v_add_co_u32 v0, vcc_lo, v30, s6
	v_add_co_ci_u32_e32 v1, vcc_lo, s5, v31, vcc_lo
	global_store_dwordx4 v[24:25], v[4:7], off
	global_store_dwordx4 v[26:27], v[8:11], off
	;; [unrolled: 1-line block ×5, first 2 shown]
.LBB0_10:
	s_endpgm
	.section	.rodata,"a",@progbits
	.p2align	6, 0x0
	.amdhsa_kernel bluestein_single_fwd_len60_dim1_dp_op_CI_CI
		.amdhsa_group_segment_fixed_size 5760
		.amdhsa_private_segment_fixed_size 0
		.amdhsa_kernarg_size 104
		.amdhsa_user_sgpr_count 6
		.amdhsa_user_sgpr_private_segment_buffer 1
		.amdhsa_user_sgpr_dispatch_ptr 0
		.amdhsa_user_sgpr_queue_ptr 0
		.amdhsa_user_sgpr_kernarg_segment_ptr 1
		.amdhsa_user_sgpr_dispatch_id 0
		.amdhsa_user_sgpr_flat_scratch_init 0
		.amdhsa_user_sgpr_private_segment_size 0
		.amdhsa_wavefront_size32 1
		.amdhsa_uses_dynamic_stack 0
		.amdhsa_system_sgpr_private_segment_wavefront_offset 0
		.amdhsa_system_sgpr_workgroup_id_x 1
		.amdhsa_system_sgpr_workgroup_id_y 0
		.amdhsa_system_sgpr_workgroup_id_z 0
		.amdhsa_system_sgpr_workgroup_info 0
		.amdhsa_system_vgpr_workitem_id 0
		.amdhsa_next_free_vgpr 178
		.amdhsa_next_free_sgpr 23
		.amdhsa_reserve_vcc 1
		.amdhsa_reserve_flat_scratch 0
		.amdhsa_float_round_mode_32 0
		.amdhsa_float_round_mode_16_64 0
		.amdhsa_float_denorm_mode_32 3
		.amdhsa_float_denorm_mode_16_64 3
		.amdhsa_dx10_clamp 1
		.amdhsa_ieee_mode 1
		.amdhsa_fp16_overflow 0
		.amdhsa_workgroup_processor_mode 1
		.amdhsa_memory_ordered 1
		.amdhsa_forward_progress 0
		.amdhsa_shared_vgpr_count 0
		.amdhsa_exception_fp_ieee_invalid_op 0
		.amdhsa_exception_fp_denorm_src 0
		.amdhsa_exception_fp_ieee_div_zero 0
		.amdhsa_exception_fp_ieee_overflow 0
		.amdhsa_exception_fp_ieee_underflow 0
		.amdhsa_exception_fp_ieee_inexact 0
		.amdhsa_exception_int_div_zero 0
	.end_amdhsa_kernel
	.text
.Lfunc_end0:
	.size	bluestein_single_fwd_len60_dim1_dp_op_CI_CI, .Lfunc_end0-bluestein_single_fwd_len60_dim1_dp_op_CI_CI
                                        ; -- End function
	.section	.AMDGPU.csdata,"",@progbits
; Kernel info:
; codeLenInByte = 6568
; NumSgprs: 25
; NumVgprs: 178
; ScratchSize: 0
; MemoryBound: 0
; FloatMode: 240
; IeeeMode: 1
; LDSByteSize: 5760 bytes/workgroup (compile time only)
; SGPRBlocks: 3
; VGPRBlocks: 22
; NumSGPRsForWavesPerEU: 25
; NumVGPRsForWavesPerEU: 178
; Occupancy: 5
; WaveLimiterHint : 1
; COMPUTE_PGM_RSRC2:SCRATCH_EN: 0
; COMPUTE_PGM_RSRC2:USER_SGPR: 6
; COMPUTE_PGM_RSRC2:TRAP_HANDLER: 0
; COMPUTE_PGM_RSRC2:TGID_X_EN: 1
; COMPUTE_PGM_RSRC2:TGID_Y_EN: 0
; COMPUTE_PGM_RSRC2:TGID_Z_EN: 0
; COMPUTE_PGM_RSRC2:TIDIG_COMP_CNT: 0
	.text
	.p2alignl 6, 3214868480
	.fill 48, 4, 3214868480
	.type	__hip_cuid_880c860d465d5841,@object ; @__hip_cuid_880c860d465d5841
	.section	.bss,"aw",@nobits
	.globl	__hip_cuid_880c860d465d5841
__hip_cuid_880c860d465d5841:
	.byte	0                               ; 0x0
	.size	__hip_cuid_880c860d465d5841, 1

	.ident	"AMD clang version 19.0.0git (https://github.com/RadeonOpenCompute/llvm-project roc-6.4.0 25133 c7fe45cf4b819c5991fe208aaa96edf142730f1d)"
	.section	".note.GNU-stack","",@progbits
	.addrsig
	.addrsig_sym __hip_cuid_880c860d465d5841
	.amdgpu_metadata
---
amdhsa.kernels:
  - .args:
      - .actual_access:  read_only
        .address_space:  global
        .offset:         0
        .size:           8
        .value_kind:     global_buffer
      - .actual_access:  read_only
        .address_space:  global
        .offset:         8
        .size:           8
        .value_kind:     global_buffer
      - .actual_access:  read_only
        .address_space:  global
        .offset:         16
        .size:           8
        .value_kind:     global_buffer
      - .actual_access:  read_only
        .address_space:  global
        .offset:         24
        .size:           8
        .value_kind:     global_buffer
      - .actual_access:  read_only
        .address_space:  global
        .offset:         32
        .size:           8
        .value_kind:     global_buffer
      - .offset:         40
        .size:           8
        .value_kind:     by_value
      - .address_space:  global
        .offset:         48
        .size:           8
        .value_kind:     global_buffer
      - .address_space:  global
        .offset:         56
        .size:           8
        .value_kind:     global_buffer
      - .address_space:  global
        .offset:         64
        .size:           8
        .value_kind:     global_buffer
      - .address_space:  global
        .offset:         72
        .size:           8
        .value_kind:     global_buffer
      - .offset:         80
        .size:           4
        .value_kind:     by_value
      - .address_space:  global
        .offset:         88
        .size:           8
        .value_kind:     global_buffer
      - .address_space:  global
        .offset:         96
        .size:           8
        .value_kind:     global_buffer
    .group_segment_fixed_size: 5760
    .kernarg_segment_align: 8
    .kernarg_segment_size: 104
    .language:       OpenCL C
    .language_version:
      - 2
      - 0
    .max_flat_workgroup_size: 60
    .name:           bluestein_single_fwd_len60_dim1_dp_op_CI_CI
    .private_segment_fixed_size: 0
    .sgpr_count:     25
    .sgpr_spill_count: 0
    .symbol:         bluestein_single_fwd_len60_dim1_dp_op_CI_CI.kd
    .uniform_work_group_size: 1
    .uses_dynamic_stack: false
    .vgpr_count:     178
    .vgpr_spill_count: 0
    .wavefront_size: 32
    .workgroup_processor_mode: 1
amdhsa.target:   amdgcn-amd-amdhsa--gfx1030
amdhsa.version:
  - 1
  - 2
...

	.end_amdgpu_metadata
